;; amdgpu-corpus repo=zjin-lcf/HeCBench kind=compiled arch=gfx1100 opt=O3
	.text
	.amdgcn_target "amdgcn-amd-amdhsa--gfx1100"
	.amdhsa_code_object_version 6
	.protected	_Z9dwtHaar1DPKfPfS1_jjjj ; -- Begin function _Z9dwtHaar1DPKfPfS1_jjjj
	.globl	_Z9dwtHaar1DPKfPfS1_jjjj
	.p2align	8
	.type	_Z9dwtHaar1DPKfPfS1_jjjj,@function
_Z9dwtHaar1DPKfPfS1_jjjj:               ; @_Z9dwtHaar1DPKfPfS1_jjjj
; %bb.0:
	s_clause 0x1
	s_load_b32 s3, s[0:1], 0x34
	s_load_b64 s[10:11], s[0:1], 0x0
	v_lshlrev_b32_e32 v1, 2, v0
	s_load_b128 s[4:7], s[0:1], 0x18
	s_mov_b32 s2, s15
	s_waitcnt lgkmcnt(0)
	s_and_b32 s8, s3, 0xffff
	s_delay_alu instid0(SALU_CYCLE_1) | instskip(SKIP_1) | instid1(SALU_CYCLE_1)
	s_mul_hi_u32 s13, s15, s8
	s_mul_i32 s12, s15, s8
	s_lshl_b64 s[12:13], s[12:13], 3
	s_delay_alu instid0(SALU_CYCLE_1) | instskip(SKIP_2) | instid1(SALU_CYCLE_1)
	s_add_u32 s10, s10, s12
	s_addc_u32 s11, s11, s13
	s_lshl_b32 s3, s8, 2
	s_add_u32 s12, s10, s3
	s_addc_u32 s13, s11, 0
	s_clause 0x1
	global_load_b32 v2, v1, s[10:11]
	global_load_b32 v3, v1, s[12:13]
	s_cmp_lg_u32 s6, 0
	s_mov_b32 s3, 0
	s_cbranch_scc1 .LBB0_2
; %bb.1:
	v_cvt_f32_u32_e32 v4, s5
	s_cmp_eq_u32 s5, 0
	s_cselect_b32 vcc_lo, -1, 0
	s_delay_alu instid0(VALU_DEP_1) | instskip(SKIP_2) | instid1(VALU_DEP_1)
	v_rsq_f32_e32 v4, v4
	s_waitcnt_depctr 0xfff
	v_mul_f32_e32 v5, 0x45800000, v4
	v_cndmask_b32_e32 v4, v4, v5, vcc_lo
	s_waitcnt vmcnt(1)
	s_delay_alu instid0(VALU_DEP_1)
	v_mul_f32_e32 v2, v4, v2
	s_waitcnt vmcnt(0)
	v_mul_f32_e32 v3, v4, v3
.LBB0_2:
	v_lshl_add_u32 v5, v0, 2, 0
	s_min_u32 s4, s4, s7
	s_delay_alu instid0(SALU_CYCLE_1) | instskip(NEXT) | instid1(VALU_DEP_1)
	s_cmp_eq_u32 s4, 0
	v_lshl_add_u32 v4, s8, 2, v5
	s_waitcnt vmcnt(1)
	ds_store_b32 v5, v2
	s_waitcnt vmcnt(0)
	ds_store_b32 v4, v3
	s_waitcnt lgkmcnt(0)
	s_barrier
	buffer_gl0_inv
	s_cbranch_scc1 .LBB0_9
; %bb.3:
	s_load_b64 s[6:7], s[0:1], 0x8
	s_lshl_b32 s8, 1, s4
	s_lshr_b32 s5, s5, 1
	s_lshr_b32 s9, s8, 31
	v_dual_mov_b32 v6, s5 :: v_dual_add_nc_u32 v7, v5, v1
	v_mov_b32_e32 v2, 0
	s_add_i32 s8, s8, s9
                                        ; implicit-def: $vgpr4
	s_delay_alu instid0(SALU_CYCLE_1)
	s_ashr_i32 s5, s8, 1
	s_set_inst_prefetch_distance 0x1
	s_branch .LBB0_5
	.p2align	6
.LBB0_4:                                ;   in Loop: Header=BB0_5 Depth=1
	s_or_b32 exec_lo, exec_lo, s8
	s_add_i32 s4, s4, -1
	s_lshr_b32 s5, s5, 1
	s_cmp_eq_u32 s4, 0
	s_waitcnt lgkmcnt(0)
	s_waitcnt_vscnt null, 0x0
	s_barrier
	buffer_gl0_inv
	s_cbranch_scc1 .LBB0_9
.LBB0_5:                                ; =>This Inner Loop Header: Depth=1
	v_cmp_gt_u32_e32 vcc_lo, s5, v0
	s_and_saveexec_b32 s8, vcc_lo
	s_cbranch_execz .LBB0_7
; %bb.6:                                ;   in Loop: Header=BB0_5 Depth=1
	ds_load_2addr_b32 v[3:4], v7 offset1:1
.LBB0_7:                                ;   in Loop: Header=BB0_5 Depth=1
	s_or_b32 exec_lo, exec_lo, s8
	s_waitcnt lgkmcnt(0)
	s_barrier
	buffer_gl0_inv
	s_and_saveexec_b32 s8, vcc_lo
	s_cbranch_execz .LBB0_4
; %bb.8:                                ;   in Loop: Header=BB0_5 Depth=1
	s_mul_i32 s9, s5, s2
	v_add_f32_e32 v10, v3, v4
	v_add3_u32 v1, v6, v0, s9
	v_sub_f32_e32 v11, v3, v4
	v_lshrrev_b32_e32 v6, 1, v6
	s_delay_alu instid0(VALU_DEP_3) | instskip(NEXT) | instid1(VALU_DEP_3)
	v_lshlrev_b64 v[8:9], 2, v[1:2]
	v_dual_mul_f32 v1, 0x3f350481, v10 :: v_dual_mul_f32 v10, 0x3f350481, v11
	ds_store_b32 v5, v1
	v_add_co_u32 v8, vcc_lo, s6, v8
	v_add_co_ci_u32_e32 v9, vcc_lo, s7, v9, vcc_lo
	global_store_b32 v[8:9], v10, off
	s_branch .LBB0_4
.LBB0_9:
	s_set_inst_prefetch_distance 0x2
	s_mov_b32 s4, exec_lo
	v_cmpx_eq_u32_e32 0, v0
	s_cbranch_execz .LBB0_11
; %bb.10:
	v_mov_b32_e32 v0, 0
	s_load_b64 s[0:1], s[0:1], 0x10
	s_lshl_b64 s[2:3], s[2:3], 2
	ds_load_b32 v1, v0
	s_waitcnt lgkmcnt(0)
	s_add_u32 s0, s0, s2
	s_addc_u32 s1, s1, s3
	global_store_b32 v0, v1, s[0:1]
.LBB0_11:
	s_nop 0
	s_sendmsg sendmsg(MSG_DEALLOC_VGPRS)
	s_endpgm
	.section	.rodata,"a",@progbits
	.p2align	6, 0x0
	.amdhsa_kernel _Z9dwtHaar1DPKfPfS1_jjjj
		.amdhsa_group_segment_fixed_size 0
		.amdhsa_private_segment_fixed_size 0
		.amdhsa_kernarg_size 296
		.amdhsa_user_sgpr_count 15
		.amdhsa_user_sgpr_dispatch_ptr 0
		.amdhsa_user_sgpr_queue_ptr 0
		.amdhsa_user_sgpr_kernarg_segment_ptr 1
		.amdhsa_user_sgpr_dispatch_id 0
		.amdhsa_user_sgpr_private_segment_size 0
		.amdhsa_wavefront_size32 1
		.amdhsa_uses_dynamic_stack 0
		.amdhsa_enable_private_segment 0
		.amdhsa_system_sgpr_workgroup_id_x 1
		.amdhsa_system_sgpr_workgroup_id_y 0
		.amdhsa_system_sgpr_workgroup_id_z 0
		.amdhsa_system_sgpr_workgroup_info 0
		.amdhsa_system_vgpr_workitem_id 0
		.amdhsa_next_free_vgpr 12
		.amdhsa_next_free_sgpr 16
		.amdhsa_reserve_vcc 1
		.amdhsa_float_round_mode_32 0
		.amdhsa_float_round_mode_16_64 0
		.amdhsa_float_denorm_mode_32 3
		.amdhsa_float_denorm_mode_16_64 3
		.amdhsa_dx10_clamp 1
		.amdhsa_ieee_mode 1
		.amdhsa_fp16_overflow 0
		.amdhsa_workgroup_processor_mode 1
		.amdhsa_memory_ordered 1
		.amdhsa_forward_progress 0
		.amdhsa_shared_vgpr_count 0
		.amdhsa_exception_fp_ieee_invalid_op 0
		.amdhsa_exception_fp_denorm_src 0
		.amdhsa_exception_fp_ieee_div_zero 0
		.amdhsa_exception_fp_ieee_overflow 0
		.amdhsa_exception_fp_ieee_underflow 0
		.amdhsa_exception_fp_ieee_inexact 0
		.amdhsa_exception_int_div_zero 0
	.end_amdhsa_kernel
	.text
.Lfunc_end0:
	.size	_Z9dwtHaar1DPKfPfS1_jjjj, .Lfunc_end0-_Z9dwtHaar1DPKfPfS1_jjjj
                                        ; -- End function
	.section	.AMDGPU.csdata,"",@progbits
; Kernel info:
; codeLenInByte = 540
; NumSgprs: 18
; NumVgprs: 12
; ScratchSize: 0
; MemoryBound: 0
; FloatMode: 240
; IeeeMode: 1
; LDSByteSize: 0 bytes/workgroup (compile time only)
; SGPRBlocks: 2
; VGPRBlocks: 1
; NumSGPRsForWavesPerEU: 18
; NumVGPRsForWavesPerEU: 12
; Occupancy: 16
; WaveLimiterHint : 0
; COMPUTE_PGM_RSRC2:SCRATCH_EN: 0
; COMPUTE_PGM_RSRC2:USER_SGPR: 15
; COMPUTE_PGM_RSRC2:TRAP_HANDLER: 0
; COMPUTE_PGM_RSRC2:TGID_X_EN: 1
; COMPUTE_PGM_RSRC2:TGID_Y_EN: 0
; COMPUTE_PGM_RSRC2:TGID_Z_EN: 0
; COMPUTE_PGM_RSRC2:TIDIG_COMP_CNT: 0
	.text
	.p2alignl 7, 3214868480
	.fill 96, 4, 3214868480
	.type	__hip_cuid_e820d5c9b62e629f,@object ; @__hip_cuid_e820d5c9b62e629f
	.section	.bss,"aw",@nobits
	.globl	__hip_cuid_e820d5c9b62e629f
__hip_cuid_e820d5c9b62e629f:
	.byte	0                               ; 0x0
	.size	__hip_cuid_e820d5c9b62e629f, 1

	.ident	"AMD clang version 19.0.0git (https://github.com/RadeonOpenCompute/llvm-project roc-6.4.0 25133 c7fe45cf4b819c5991fe208aaa96edf142730f1d)"
	.section	".note.GNU-stack","",@progbits
	.addrsig
	.addrsig_sym __hip_cuid_e820d5c9b62e629f
	.amdgpu_metadata
---
amdhsa.kernels:
  - .args:
      - .actual_access:  read_only
        .address_space:  global
        .offset:         0
        .size:           8
        .value_kind:     global_buffer
      - .actual_access:  write_only
        .address_space:  global
        .offset:         8
        .size:           8
        .value_kind:     global_buffer
      - .actual_access:  write_only
        .address_space:  global
        .offset:         16
        .size:           8
        .value_kind:     global_buffer
      - .offset:         24
        .size:           4
        .value_kind:     by_value
      - .offset:         28
        .size:           4
        .value_kind:     by_value
      - .offset:         32
        .size:           4
        .value_kind:     by_value
      - .offset:         36
        .size:           4
        .value_kind:     by_value
      - .offset:         40
        .size:           4
        .value_kind:     hidden_block_count_x
      - .offset:         44
        .size:           4
        .value_kind:     hidden_block_count_y
      - .offset:         48
        .size:           4
        .value_kind:     hidden_block_count_z
      - .offset:         52
        .size:           2
        .value_kind:     hidden_group_size_x
      - .offset:         54
        .size:           2
        .value_kind:     hidden_group_size_y
      - .offset:         56
        .size:           2
        .value_kind:     hidden_group_size_z
      - .offset:         58
        .size:           2
        .value_kind:     hidden_remainder_x
      - .offset:         60
        .size:           2
        .value_kind:     hidden_remainder_y
      - .offset:         62
        .size:           2
        .value_kind:     hidden_remainder_z
      - .offset:         80
        .size:           8
        .value_kind:     hidden_global_offset_x
      - .offset:         88
        .size:           8
        .value_kind:     hidden_global_offset_y
      - .offset:         96
        .size:           8
        .value_kind:     hidden_global_offset_z
      - .offset:         104
        .size:           2
        .value_kind:     hidden_grid_dims
      - .offset:         160
        .size:           4
        .value_kind:     hidden_dynamic_lds_size
    .group_segment_fixed_size: 0
    .kernarg_segment_align: 8
    .kernarg_segment_size: 296
    .language:       OpenCL C
    .language_version:
      - 2
      - 0
    .max_flat_workgroup_size: 1024
    .name:           _Z9dwtHaar1DPKfPfS1_jjjj
    .private_segment_fixed_size: 0
    .sgpr_count:     18
    .sgpr_spill_count: 0
    .symbol:         _Z9dwtHaar1DPKfPfS1_jjjj.kd
    .uniform_work_group_size: 1
    .uses_dynamic_stack: false
    .vgpr_count:     12
    .vgpr_spill_count: 0
    .wavefront_size: 32
    .workgroup_processor_mode: 1
amdhsa.target:   amdgcn-amd-amdhsa--gfx1100
amdhsa.version:
  - 1
  - 2
...

	.end_amdgpu_metadata
